;; amdgpu-corpus repo=ROCm/rocFFT kind=compiled arch=gfx1030 opt=O3
	.text
	.amdgcn_target "amdgcn-amd-amdhsa--gfx1030"
	.amdhsa_code_object_version 6
	.protected	fft_rtc_fwd_len550_factors_11_10_5_wgs_55_tpt_55_dp_ip_CI_unitstride_sbrr_dirReg ; -- Begin function fft_rtc_fwd_len550_factors_11_10_5_wgs_55_tpt_55_dp_ip_CI_unitstride_sbrr_dirReg
	.globl	fft_rtc_fwd_len550_factors_11_10_5_wgs_55_tpt_55_dp_ip_CI_unitstride_sbrr_dirReg
	.p2align	8
	.type	fft_rtc_fwd_len550_factors_11_10_5_wgs_55_tpt_55_dp_ip_CI_unitstride_sbrr_dirReg,@function
fft_rtc_fwd_len550_factors_11_10_5_wgs_55_tpt_55_dp_ip_CI_unitstride_sbrr_dirReg: ; @fft_rtc_fwd_len550_factors_11_10_5_wgs_55_tpt_55_dp_ip_CI_unitstride_sbrr_dirReg
; %bb.0:
	s_clause 0x2
	s_load_dwordx4 s[8:11], s[4:5], 0x0
	s_load_dwordx2 s[2:3], s[4:5], 0x50
	s_load_dwordx2 s[12:13], s[4:5], 0x18
	v_mul_u32_u24_e32 v1, 0x4a8, v0
	v_mov_b32_e32 v3, 0
	v_add_nc_u32_sdwa v5, s6, v1 dst_sel:DWORD dst_unused:UNUSED_PAD src0_sel:DWORD src1_sel:WORD_1
	v_mov_b32_e32 v1, 0
	v_mov_b32_e32 v6, v3
	v_mov_b32_e32 v2, 0
	s_waitcnt lgkmcnt(0)
	v_cmp_lt_u64_e64 s0, s[10:11], 2
	s_and_b32 vcc_lo, exec_lo, s0
	s_cbranch_vccnz .LBB0_8
; %bb.1:
	s_load_dwordx2 s[0:1], s[4:5], 0x10
	v_mov_b32_e32 v1, 0
	s_add_u32 s6, s12, 8
	v_mov_b32_e32 v2, 0
	s_addc_u32 s7, s13, 0
	s_mov_b64 s[16:17], 1
	s_waitcnt lgkmcnt(0)
	s_add_u32 s14, s0, 8
	s_addc_u32 s15, s1, 0
.LBB0_2:                                ; =>This Inner Loop Header: Depth=1
	s_load_dwordx2 s[18:19], s[14:15], 0x0
                                        ; implicit-def: $vgpr7_vgpr8
	s_mov_b32 s0, exec_lo
	s_waitcnt lgkmcnt(0)
	v_or_b32_e32 v4, s19, v6
	v_cmpx_ne_u64_e32 0, v[3:4]
	s_xor_b32 s1, exec_lo, s0
	s_cbranch_execz .LBB0_4
; %bb.3:                                ;   in Loop: Header=BB0_2 Depth=1
	v_cvt_f32_u32_e32 v4, s18
	v_cvt_f32_u32_e32 v7, s19
	s_sub_u32 s0, 0, s18
	s_subb_u32 s20, 0, s19
	v_fmac_f32_e32 v4, 0x4f800000, v7
	v_rcp_f32_e32 v4, v4
	v_mul_f32_e32 v4, 0x5f7ffffc, v4
	v_mul_f32_e32 v7, 0x2f800000, v4
	v_trunc_f32_e32 v7, v7
	v_fmac_f32_e32 v4, 0xcf800000, v7
	v_cvt_u32_f32_e32 v7, v7
	v_cvt_u32_f32_e32 v4, v4
	v_mul_lo_u32 v8, s0, v7
	v_mul_hi_u32 v9, s0, v4
	v_mul_lo_u32 v10, s20, v4
	v_add_nc_u32_e32 v8, v9, v8
	v_mul_lo_u32 v9, s0, v4
	v_add_nc_u32_e32 v8, v8, v10
	v_mul_hi_u32 v10, v4, v9
	v_mul_lo_u32 v11, v4, v8
	v_mul_hi_u32 v12, v4, v8
	v_mul_hi_u32 v13, v7, v9
	v_mul_lo_u32 v9, v7, v9
	v_mul_hi_u32 v14, v7, v8
	v_mul_lo_u32 v8, v7, v8
	v_add_co_u32 v10, vcc_lo, v10, v11
	v_add_co_ci_u32_e32 v11, vcc_lo, 0, v12, vcc_lo
	v_add_co_u32 v9, vcc_lo, v10, v9
	v_add_co_ci_u32_e32 v9, vcc_lo, v11, v13, vcc_lo
	v_add_co_ci_u32_e32 v10, vcc_lo, 0, v14, vcc_lo
	v_add_co_u32 v8, vcc_lo, v9, v8
	v_add_co_ci_u32_e32 v9, vcc_lo, 0, v10, vcc_lo
	v_add_co_u32 v4, vcc_lo, v4, v8
	v_add_co_ci_u32_e32 v7, vcc_lo, v7, v9, vcc_lo
	v_mul_hi_u32 v8, s0, v4
	v_mul_lo_u32 v10, s20, v4
	v_mul_lo_u32 v9, s0, v7
	v_add_nc_u32_e32 v8, v8, v9
	v_mul_lo_u32 v9, s0, v4
	v_add_nc_u32_e32 v8, v8, v10
	v_mul_hi_u32 v10, v4, v9
	v_mul_lo_u32 v11, v4, v8
	v_mul_hi_u32 v12, v4, v8
	v_mul_hi_u32 v13, v7, v9
	v_mul_lo_u32 v9, v7, v9
	v_mul_hi_u32 v14, v7, v8
	v_mul_lo_u32 v8, v7, v8
	v_add_co_u32 v10, vcc_lo, v10, v11
	v_add_co_ci_u32_e32 v11, vcc_lo, 0, v12, vcc_lo
	v_add_co_u32 v9, vcc_lo, v10, v9
	v_add_co_ci_u32_e32 v9, vcc_lo, v11, v13, vcc_lo
	v_add_co_ci_u32_e32 v10, vcc_lo, 0, v14, vcc_lo
	v_add_co_u32 v8, vcc_lo, v9, v8
	v_add_co_ci_u32_e32 v9, vcc_lo, 0, v10, vcc_lo
	v_add_co_u32 v4, vcc_lo, v4, v8
	v_add_co_ci_u32_e32 v11, vcc_lo, v7, v9, vcc_lo
	v_mul_hi_u32 v13, v5, v4
	v_mad_u64_u32 v[9:10], null, v6, v4, 0
	v_mad_u64_u32 v[7:8], null, v5, v11, 0
	;; [unrolled: 1-line block ×3, first 2 shown]
	v_add_co_u32 v4, vcc_lo, v13, v7
	v_add_co_ci_u32_e32 v7, vcc_lo, 0, v8, vcc_lo
	v_add_co_u32 v4, vcc_lo, v4, v9
	v_add_co_ci_u32_e32 v4, vcc_lo, v7, v10, vcc_lo
	v_add_co_ci_u32_e32 v7, vcc_lo, 0, v12, vcc_lo
	v_add_co_u32 v4, vcc_lo, v4, v11
	v_add_co_ci_u32_e32 v9, vcc_lo, 0, v7, vcc_lo
	v_mul_lo_u32 v10, s19, v4
	v_mad_u64_u32 v[7:8], null, s18, v4, 0
	v_mul_lo_u32 v11, s18, v9
	v_sub_co_u32 v7, vcc_lo, v5, v7
	v_add3_u32 v8, v8, v11, v10
	v_sub_nc_u32_e32 v10, v6, v8
	v_subrev_co_ci_u32_e64 v10, s0, s19, v10, vcc_lo
	v_add_co_u32 v11, s0, v4, 2
	v_add_co_ci_u32_e64 v12, s0, 0, v9, s0
	v_sub_co_u32 v13, s0, v7, s18
	v_sub_co_ci_u32_e32 v8, vcc_lo, v6, v8, vcc_lo
	v_subrev_co_ci_u32_e64 v10, s0, 0, v10, s0
	v_cmp_le_u32_e32 vcc_lo, s18, v13
	v_cmp_eq_u32_e64 s0, s19, v8
	v_cndmask_b32_e64 v13, 0, -1, vcc_lo
	v_cmp_le_u32_e32 vcc_lo, s19, v10
	v_cndmask_b32_e64 v14, 0, -1, vcc_lo
	v_cmp_le_u32_e32 vcc_lo, s18, v7
	;; [unrolled: 2-line block ×3, first 2 shown]
	v_cndmask_b32_e64 v15, 0, -1, vcc_lo
	v_cmp_eq_u32_e32 vcc_lo, s19, v10
	v_cndmask_b32_e64 v7, v15, v7, s0
	v_cndmask_b32_e32 v10, v14, v13, vcc_lo
	v_add_co_u32 v13, vcc_lo, v4, 1
	v_add_co_ci_u32_e32 v14, vcc_lo, 0, v9, vcc_lo
	v_cmp_ne_u32_e32 vcc_lo, 0, v10
	v_cndmask_b32_e32 v8, v14, v12, vcc_lo
	v_cndmask_b32_e32 v10, v13, v11, vcc_lo
	v_cmp_ne_u32_e32 vcc_lo, 0, v7
	v_cndmask_b32_e32 v8, v9, v8, vcc_lo
	v_cndmask_b32_e32 v7, v4, v10, vcc_lo
.LBB0_4:                                ;   in Loop: Header=BB0_2 Depth=1
	s_andn2_saveexec_b32 s0, s1
	s_cbranch_execz .LBB0_6
; %bb.5:                                ;   in Loop: Header=BB0_2 Depth=1
	v_cvt_f32_u32_e32 v4, s18
	s_sub_i32 s1, 0, s18
	v_rcp_iflag_f32_e32 v4, v4
	v_mul_f32_e32 v4, 0x4f7ffffe, v4
	v_cvt_u32_f32_e32 v4, v4
	v_mul_lo_u32 v7, s1, v4
	v_mul_hi_u32 v7, v4, v7
	v_add_nc_u32_e32 v4, v4, v7
	v_mul_hi_u32 v4, v5, v4
	v_mul_lo_u32 v7, v4, s18
	v_add_nc_u32_e32 v8, 1, v4
	v_sub_nc_u32_e32 v7, v5, v7
	v_subrev_nc_u32_e32 v9, s18, v7
	v_cmp_le_u32_e32 vcc_lo, s18, v7
	v_cndmask_b32_e32 v7, v7, v9, vcc_lo
	v_cndmask_b32_e32 v4, v4, v8, vcc_lo
	v_cmp_le_u32_e32 vcc_lo, s18, v7
	v_add_nc_u32_e32 v8, 1, v4
	v_cndmask_b32_e32 v7, v4, v8, vcc_lo
	v_mov_b32_e32 v8, v3
.LBB0_6:                                ;   in Loop: Header=BB0_2 Depth=1
	s_or_b32 exec_lo, exec_lo, s0
	s_load_dwordx2 s[0:1], s[6:7], 0x0
	v_mul_lo_u32 v4, v8, s18
	v_mul_lo_u32 v11, v7, s19
	v_mad_u64_u32 v[9:10], null, v7, s18, 0
	s_add_u32 s16, s16, 1
	s_addc_u32 s17, s17, 0
	s_add_u32 s6, s6, 8
	s_addc_u32 s7, s7, 0
	;; [unrolled: 2-line block ×3, first 2 shown]
	v_add3_u32 v4, v10, v11, v4
	v_sub_co_u32 v5, vcc_lo, v5, v9
	v_sub_co_ci_u32_e32 v4, vcc_lo, v6, v4, vcc_lo
	s_waitcnt lgkmcnt(0)
	v_mul_lo_u32 v6, s1, v5
	v_mul_lo_u32 v4, s0, v4
	v_mad_u64_u32 v[1:2], null, s0, v5, v[1:2]
	v_cmp_ge_u64_e64 s0, s[16:17], s[10:11]
	s_and_b32 vcc_lo, exec_lo, s0
	v_add3_u32 v2, v6, v2, v4
	s_cbranch_vccnz .LBB0_9
; %bb.7:                                ;   in Loop: Header=BB0_2 Depth=1
	v_mov_b32_e32 v5, v7
	v_mov_b32_e32 v6, v8
	s_branch .LBB0_2
.LBB0_8:
	v_mov_b32_e32 v8, v6
	v_mov_b32_e32 v7, v5
.LBB0_9:
	s_lshl_b64 s[0:1], s[10:11], 3
	v_mul_hi_u32 v3, 0x4a7904b, v0
	s_add_u32 s0, s12, s0
	s_addc_u32 s1, s13, s1
	s_load_dwordx2 s[0:1], s[0:1], 0x0
	s_load_dwordx2 s[4:5], s[4:5], 0x20
	v_mul_u32_u24_e32 v3, 55, v3
	v_sub_nc_u32_e32 v44, v0, v3
	v_lshl_add_u32 v60, v44, 4, 0
	s_waitcnt lgkmcnt(0)
	v_mul_lo_u32 v4, s0, v8
	v_mul_lo_u32 v5, s1, v7
	v_mad_u64_u32 v[1:2], null, s0, v7, v[1:2]
	v_cmp_gt_u64_e32 vcc_lo, s[4:5], v[7:8]
	v_add3_u32 v2, v5, v2, v4
	v_lshlrev_b64 v[46:47], 4, v[1:2]
	s_and_saveexec_b32 s1, vcc_lo
	s_cbranch_execz .LBB0_11
; %bb.10:
	v_mov_b32_e32 v45, 0
	v_add_co_u32 v2, s0, s2, v46
	v_add_co_ci_u32_e64 v3, s0, s3, v47, s0
	v_lshlrev_b64 v[0:1], 4, v[44:45]
	v_add_co_u32 v8, s0, v2, v0
	v_add_co_ci_u32_e64 v9, s0, v3, v1, s0
	s_clause 0x1
	global_load_dwordx4 v[0:3], v[8:9], off
	global_load_dwordx4 v[4:7], v[8:9], off offset:880
	v_add_co_u32 v16, s0, 0x800, v8
	v_add_co_ci_u32_e64 v17, s0, 0, v9, s0
	v_add_co_u32 v24, s0, 0x1000, v8
	v_add_co_ci_u32_e64 v25, s0, 0, v9, s0
	;; [unrolled: 2-line block ×3, first 2 shown]
	s_clause 0x7
	global_load_dwordx4 v[8:11], v[8:9], off offset:1760
	global_load_dwordx4 v[12:15], v[16:17], off offset:592
	;; [unrolled: 1-line block ×8, first 2 shown]
	s_waitcnt vmcnt(9)
	ds_write_b128 v60, v[0:3]
	s_waitcnt vmcnt(8)
	ds_write_b128 v60, v[4:7] offset:880
	s_waitcnt vmcnt(7)
	ds_write_b128 v60, v[8:11] offset:1760
	s_waitcnt vmcnt(6)
	ds_write_b128 v60, v[12:15] offset:2640
	s_waitcnt vmcnt(5)
	ds_write_b128 v60, v[16:19] offset:3520
	s_waitcnt vmcnt(4)
	ds_write_b128 v60, v[20:23] offset:4400
	s_waitcnt vmcnt(3)
	ds_write_b128 v60, v[24:27] offset:5280
	s_waitcnt vmcnt(2)
	ds_write_b128 v60, v[28:31] offset:6160
	s_waitcnt vmcnt(1)
	ds_write_b128 v60, v[32:35] offset:7040
	s_waitcnt vmcnt(0)
	ds_write_b128 v60, v[36:39] offset:7920
.LBB0_11:
	s_or_b32 exec_lo, exec_lo, s1
	s_waitcnt lgkmcnt(0)
	s_barrier
	buffer_gl0_inv
	ds_read_b128 v[4:7], v60
	ds_read_b128 v[28:31], v60 offset:800
	ds_read_b128 v[32:35], v60 offset:1600
	;; [unrolled: 1-line block ×10, first 2 shown]
	s_mov_b32 s33, exec_lo
	s_waitcnt lgkmcnt(0)
	s_barrier
	buffer_gl0_inv
	v_cmpx_gt_u32_e32 50, v44
	s_cbranch_execz .LBB0_13
; %bb.12:
	v_add_f64 v[50:51], v[4:5], v[28:29]
	v_add_f64 v[48:49], v[6:7], v[30:31]
	;; [unrolled: 1-line block ×3, first 2 shown]
	v_add_f64 v[67:68], v[30:31], -v[2:3]
	s_mov_b32 s0, 0x9bcd5057
	s_mov_b32 s6, 0xfd768dbf
	;; [unrolled: 1-line block ×8, first 2 shown]
	v_add_f64 v[52:53], v[38:39], v[26:27]
	v_add_f64 v[54:55], v[38:39], -v[26:27]
	v_add_f64 v[69:70], v[34:35], v[10:11]
	s_mov_b32 s4, 0x8764f0ba
	s_mov_b32 s12, 0xf8bb580b
	;; [unrolled: 1-line block ×7, first 2 shown]
	v_add_f64 v[50:51], v[50:51], v[32:33]
	v_add_f64 v[48:49], v[48:49], v[34:35]
	v_add_f64 v[34:35], v[34:35], -v[10:11]
	v_mul_f64 v[71:72], v[67:68], s[10:11]
	s_mov_b32 s17, 0x3fe14ced
	s_mov_b32 s19, 0x3fe82f19
	;; [unrolled: 1-line block ×9, first 2 shown]
	v_add_f64 v[58:59], v[42:43], v[22:23]
	v_add_f64 v[56:57], v[40:41], -v[20:21]
	v_add_f64 v[30:31], v[40:41], v[20:21]
	v_mul_f64 v[73:74], v[69:70], s[4:5]
	v_mul_f64 v[81:82], v[65:66], s[22:23]
	v_add_f64 v[83:84], v[14:15], v[18:19]
	v_mul_f64 v[85:86], v[67:68], s[24:25]
	v_mul_f64 v[89:90], v[69:70], s[22:23]
	v_add_f64 v[87:88], v[12:13], -v[16:17]
	v_add_f64 v[50:51], v[50:51], v[12:13]
	v_add_f64 v[48:49], v[48:49], v[14:15]
	v_mul_f64 v[77:78], v[34:35], s[16:17]
	v_add_f64 v[14:15], v[14:15], -v[18:19]
	v_mul_f64 v[97:98], v[34:35], s[6:7]
	v_add_f64 v[12:13], v[12:13], v[16:17]
	s_mov_b32 s28, 0xd9c712b6
	s_mov_b32 s34, 0x8eee2c13
	;; [unrolled: 1-line block ×6, first 2 shown]
	v_mad_u32_u24 v45, 0xa0, v44, v60
	v_mul_f64 v[105:106], v[83:84], s[14:15]
	v_add_f64 v[63:64], v[50:51], v[40:41]
	v_add_f64 v[61:62], v[48:49], v[42:43]
	v_add_f64 v[50:51], v[36:37], -v[24:25]
	v_add_f64 v[48:49], v[36:37], v[24:25]
	v_add_f64 v[40:41], v[42:43], -v[22:23]
	v_add_f64 v[42:43], v[32:33], -v[8:9]
	v_add_f64 v[32:33], v[32:33], v[8:9]
	v_mul_f64 v[107:108], v[14:15], s[20:21]
	v_add_f64 v[36:37], v[63:64], v[36:37]
	v_add_f64 v[38:39], v[61:62], v[38:39]
	v_add_f64 v[61:62], v[28:29], -v[0:1]
	v_mul_f64 v[63:64], v[65:66], s[0:1]
	v_add_f64 v[28:29], v[28:29], v[0:1]
	v_fma_f64 v[95:96], v[42:43], s[12:13], v[73:74]
	v_fma_f64 v[99:100], v[32:33], s[4:5], v[77:78]
	v_fma_f64 v[73:74], v[42:43], s[16:17], v[73:74]
	v_fma_f64 v[77:78], v[32:33], s[4:5], -v[77:78]
	v_add_f64 v[24:25], v[36:37], v[24:25]
	v_mul_f64 v[36:37], v[65:66], s[14:15]
	v_add_f64 v[26:27], v[38:39], v[26:27]
	v_mul_f64 v[38:39], v[67:68], s[20:21]
	v_fma_f64 v[75:76], v[61:62], s[6:7], v[63:64]
	v_fma_f64 v[79:80], v[28:29], s[0:1], v[71:72]
	;; [unrolled: 1-line block ×3, first 2 shown]
	v_fma_f64 v[71:72], v[28:29], s[0:1], -v[71:72]
	v_fma_f64 v[101:102], v[61:62], s[24:25], v[81:82]
	v_fma_f64 v[103:104], v[28:29], s[22:23], -v[85:86]
	v_fma_f64 v[85:86], v[28:29], s[22:23], v[85:86]
	v_add_f64 v[20:21], v[24:25], v[20:21]
	v_fma_f64 v[91:92], v[61:62], s[18:19], v[36:37]
	v_add_f64 v[22:23], v[26:27], v[22:23]
	v_mul_f64 v[24:25], v[34:35], s[26:27]
	v_mul_f64 v[26:27], v[69:70], s[0:1]
	v_fma_f64 v[93:94], v[28:29], s[14:15], v[38:39]
	v_fma_f64 v[36:37], v[61:62], s[20:21], v[36:37]
	v_add_f64 v[75:76], v[6:7], v[75:76]
	v_fma_f64 v[38:39], v[28:29], s[14:15], -v[38:39]
	v_add_f64 v[79:80], v[4:5], v[79:80]
	v_add_f64 v[63:64], v[6:7], v[63:64]
	;; [unrolled: 1-line block ×7, first 2 shown]
	v_fma_f64 v[20:21], v[42:43], s[24:25], v[89:90]
	v_add_f64 v[91:92], v[6:7], v[91:92]
	v_add_f64 v[18:19], v[22:23], v[18:19]
	v_fma_f64 v[22:23], v[32:33], s[22:23], v[24:25]
	v_fma_f64 v[89:90], v[42:43], s[26:27], v[89:90]
	v_add_f64 v[93:94], v[4:5], v[93:94]
	v_add_f64 v[36:37], v[6:7], v[36:37]
	v_add_f64 v[75:76], v[95:96], v[75:76]
	v_mul_f64 v[95:96], v[83:84], s[4:5]
	v_fma_f64 v[24:25], v[32:33], s[22:23], -v[24:25]
	v_add_f64 v[38:39], v[4:5], v[38:39]
	v_add_f64 v[79:80], v[99:100], v[79:80]
	v_fma_f64 v[99:100], v[42:43], s[6:7], v[26:27]
	v_add_f64 v[63:64], v[73:74], v[63:64]
	v_fma_f64 v[73:74], v[32:33], s[0:1], -v[97:98]
	v_add_f64 v[71:72], v[77:78], v[71:72]
	v_mul_f64 v[77:78], v[14:15], s[12:13]
	v_fma_f64 v[97:98], v[32:33], s[0:1], v[97:98]
	v_fma_f64 v[26:27], v[42:43], s[10:11], v[26:27]
	v_add_f64 v[8:9], v[16:17], v[8:9]
	v_add_f64 v[20:21], v[20:21], v[91:92]
	v_fma_f64 v[91:92], v[87:88], s[18:19], v[105:106]
	v_fma_f64 v[105:106], v[87:88], s[20:21], v[105:106]
	v_add_f64 v[10:11], v[18:19], v[10:11]
	v_add_f64 v[22:23], v[22:23], v[93:94]
	v_fma_f64 v[93:94], v[12:13], s[14:15], v[107:108]
	v_add_f64 v[36:37], v[89:90], v[36:37]
	v_mul_f64 v[89:90], v[58:59], s[28:29]
	v_fma_f64 v[107:108], v[12:13], s[14:15], -v[107:108]
	v_add_f64 v[24:25], v[24:25], v[38:39]
	v_mul_f64 v[38:39], v[40:41], s[30:31]
	v_add_f64 v[99:100], v[99:100], v[101:102]
	v_fma_f64 v[101:102], v[87:88], s[16:17], v[95:96]
	v_add_f64 v[73:74], v[73:74], v[103:104]
	v_fma_f64 v[95:96], v[87:88], s[12:13], v[95:96]
	v_fma_f64 v[103:104], v[12:13], s[4:5], v[77:78]
	v_fma_f64 v[77:78], v[12:13], s[4:5], -v[77:78]
	v_fma_f64 v[18:19], v[61:62], s[26:27], v[81:82]
	v_add_f64 v[85:86], v[97:98], v[85:86]
	v_add_f64 v[0:1], v[8:9], v[0:1]
	;; [unrolled: 1-line block ×3, first 2 shown]
	v_mul_f64 v[91:92], v[58:59], s[0:1]
	v_add_f64 v[63:64], v[105:106], v[63:64]
	v_add_f64 v[2:3], v[10:11], v[2:3]
	v_add_f64 v[79:80], v[93:94], v[79:80]
	v_mul_f64 v[93:94], v[83:84], s[28:29]
	v_fma_f64 v[105:106], v[56:57], s[34:35], v[89:90]
	v_add_f64 v[71:72], v[107:108], v[71:72]
	v_fma_f64 v[89:90], v[56:57], s[30:31], v[89:90]
	v_fma_f64 v[107:108], v[30:31], s[28:29], v[38:39]
	v_fma_f64 v[38:39], v[30:31], s[28:29], -v[38:39]
	v_add_f64 v[20:21], v[101:102], v[20:21]
	v_mul_f64 v[101:102], v[14:15], s[30:31]
	v_add_f64 v[36:37], v[95:96], v[36:37]
	v_add_f64 v[22:23], v[103:104], v[22:23]
	v_mul_f64 v[103:104], v[40:41], s[10:11]
	v_add_f64 v[24:25], v[77:78], v[24:25]
	v_mul_f64 v[77:78], v[58:59], s[4:5]
	v_add_f64 v[18:19], v[6:7], v[18:19]
	v_fma_f64 v[95:96], v[56:57], s[6:7], v[91:92]
	v_fma_f64 v[91:92], v[56:57], s[10:11], v[91:92]
	v_add_f64 v[75:76], v[105:106], v[75:76]
	v_fma_f64 v[105:106], v[87:88], s[30:31], v[93:94]
	v_add_f64 v[63:64], v[89:90], v[63:64]
	v_add_f64 v[79:80], v[107:108], v[79:80]
	v_mul_f64 v[89:90], v[40:41], s[12:13]
	v_add_f64 v[38:39], v[38:39], v[71:72]
	v_fma_f64 v[107:108], v[12:13], s[28:29], -v[101:102]
	v_fma_f64 v[101:102], v[12:13], s[28:29], v[101:102]
	v_fma_f64 v[93:94], v[87:88], s[34:35], v[93:94]
	;; [unrolled: 1-line block ×3, first 2 shown]
	v_fma_f64 v[103:104], v[30:31], s[0:1], -v[103:104]
	v_add_f64 v[18:19], v[26:27], v[18:19]
	v_add_f64 v[20:21], v[95:96], v[20:21]
	v_mul_f64 v[95:96], v[65:66], s[28:29]
	v_mul_f64 v[65:66], v[65:66], s[4:5]
	v_add_f64 v[36:37], v[91:92], v[36:37]
	v_add_f64 v[99:100], v[105:106], v[99:100]
	v_fma_f64 v[105:106], v[56:57], s[12:13], v[77:78]
	v_fma_f64 v[77:78], v[56:57], s[16:17], v[77:78]
	v_add_f64 v[73:74], v[107:108], v[73:74]
	v_fma_f64 v[107:108], v[30:31], s[4:5], -v[89:90]
	v_add_f64 v[85:86], v[101:102], v[85:86]
	v_add_f64 v[22:23], v[71:72], v[22:23]
	v_mul_f64 v[71:72], v[67:68], s[34:35]
	v_add_f64 v[91:92], v[103:104], v[24:25]
	v_mul_f64 v[24:25], v[67:68], s[12:13]
	v_mul_f64 v[103:104], v[69:70], s[14:15]
	;; [unrolled: 1-line block ×3, first 2 shown]
	v_fma_f64 v[89:90], v[30:31], s[4:5], v[89:90]
	v_add_f64 v[18:19], v[93:94], v[18:19]
	v_fma_f64 v[67:68], v[61:62], s[34:35], v[95:96]
	v_fma_f64 v[81:82], v[61:62], s[30:31], v[95:96]
	;; [unrolled: 1-line block ×4, first 2 shown]
	v_add_f64 v[99:100], v[105:106], v[99:100]
	v_add_f64 v[73:74], v[107:108], v[73:74]
	v_mul_f64 v[107:108], v[83:84], s[0:1]
	v_mul_f64 v[83:84], v[83:84], s[22:23]
	v_fma_f64 v[16:17], v[28:29], s[28:29], -v[71:72]
	v_fma_f64 v[71:72], v[28:29], s[28:29], v[71:72]
	v_fma_f64 v[65:66], v[28:29], s[4:5], v[24:25]
	;; [unrolled: 1-line block ×3, first 2 shown]
	v_fma_f64 v[24:25], v[28:29], s[4:5], -v[24:25]
	v_mul_f64 v[28:29], v[34:35], s[20:21]
	v_mul_f64 v[34:35], v[34:35], s[34:35]
	v_fma_f64 v[103:104], v[42:43], s[18:19], v[103:104]
	v_add_f64 v[67:68], v[6:7], v[67:68]
	v_add_f64 v[81:82], v[6:7], v[81:82]
	;; [unrolled: 1-line block ×6, first 2 shown]
	v_fma_f64 v[97:98], v[87:88], s[24:25], v[83:84]
	v_add_f64 v[16:17], v[4:5], v[16:17]
	v_add_f64 v[71:72], v[4:5], v[71:72]
	;; [unrolled: 1-line block ×4, first 2 shown]
	v_fma_f64 v[24:25], v[32:33], s[14:15], -v[28:29]
	v_fma_f64 v[28:29], v[32:33], s[14:15], v[28:29]
	v_add_f64 v[61:62], v[105:106], v[67:68]
	v_fma_f64 v[67:68], v[87:88], s[6:7], v[107:108]
	v_fma_f64 v[105:106], v[42:43], s[34:35], v[69:70]
	;; [unrolled: 1-line block ×3, first 2 shown]
	v_add_f64 v[81:82], v[103:104], v[81:82]
	v_mul_f64 v[103:104], v[40:41], s[26:27]
	v_mul_f64 v[40:41], v[40:41], s[20:21]
	;; [unrolled: 1-line block ×3, first 2 shown]
	v_add_f64 v[16:17], v[24:25], v[16:17]
	v_fma_f64 v[24:25], v[32:33], s[28:29], -v[34:35]
	v_fma_f64 v[32:33], v[32:33], s[28:29], v[34:35]
	v_add_f64 v[28:29], v[28:29], v[71:72]
	v_add_f64 v[61:62], v[67:68], v[61:62]
	v_mul_f64 v[67:68], v[58:59], s[22:23]
	v_add_f64 v[6:7], v[105:106], v[6:7]
	v_mul_f64 v[105:106], v[14:15], s[6:7]
	v_mul_f64 v[14:15], v[14:15], s[24:25]
	v_fma_f64 v[71:72], v[87:88], s[10:11], v[107:108]
	v_mul_f64 v[58:59], v[58:59], s[14:15]
	v_add_f64 v[42:43], v[42:43], v[95:96]
	v_mul_f64 v[95:96], v[52:53], s[4:5]
	v_fma_f64 v[93:94], v[30:31], s[22:23], -v[103:104]
	v_add_f64 v[4:5], v[24:25], v[4:5]
	v_add_f64 v[32:33], v[32:33], v[65:66]
	v_mul_f64 v[65:66], v[54:55], s[20:21]
	v_fma_f64 v[24:25], v[56:57], s[26:27], v[67:68]
	v_add_f64 v[6:7], v[97:98], v[6:7]
	v_fma_f64 v[26:27], v[12:13], s[0:1], -v[105:106]
	v_fma_f64 v[34:35], v[12:13], s[22:23], -v[14:15]
	v_fma_f64 v[105:106], v[12:13], s[0:1], v[105:106]
	v_fma_f64 v[12:13], v[12:13], s[22:23], v[14:15]
	v_mul_f64 v[14:15], v[52:53], s[14:15]
	v_add_f64 v[71:72], v[71:72], v[81:82]
	v_fma_f64 v[81:82], v[56:57], s[20:21], v[58:59]
	v_fma_f64 v[97:98], v[30:31], s[14:15], -v[40:41]
	v_fma_f64 v[67:68], v[56:57], s[24:25], v[67:68]
	v_fma_f64 v[56:57], v[56:57], s[18:19], v[58:59]
	v_mul_f64 v[58:59], v[54:55], s[16:17]
	v_add_f64 v[24:25], v[24:25], v[61:62]
	v_fma_f64 v[61:62], v[87:88], s[26:27], v[83:84]
	v_mul_f64 v[83:84], v[54:55], s[24:25]
	v_mul_f64 v[87:88], v[52:53], s[28:29]
	v_add_f64 v[4:5], v[34:35], v[4:5]
	v_mul_f64 v[34:35], v[54:55], s[30:31]
	v_mul_f64 v[52:53], v[52:53], s[0:1]
	;; [unrolled: 1-line block ×3, first 2 shown]
	v_add_f64 v[16:17], v[26:27], v[16:17]
	v_add_f64 v[28:29], v[105:106], v[28:29]
	;; [unrolled: 1-line block ×5, first 2 shown]
	v_fma_f64 v[26:27], v[50:51], s[26:27], v[69:70]
	v_fma_f64 v[105:106], v[50:51], s[16:17], v[95:96]
	v_fma_f64 v[107:108], v[48:49], s[4:5], -v[58:59]
	v_fma_f64 v[69:70], v[50:51], s[24:25], v[69:70]
	v_fma_f64 v[109:110], v[50:51], s[18:19], v[14:15]
	;; [unrolled: 1-line block ×3, first 2 shown]
	v_add_f64 v[42:43], v[61:62], v[42:43]
	v_fma_f64 v[61:62], v[30:31], s[22:23], v[103:104]
	v_fma_f64 v[30:31], v[30:31], s[14:15], v[40:41]
	v_add_f64 v[97:98], v[97:98], v[4:5]
	v_fma_f64 v[40:41], v[50:51], s[34:35], v[87:88]
	v_fma_f64 v[89:90], v[50:51], s[10:11], v[52:53]
	v_fma_f64 v[71:72], v[48:49], s[0:1], -v[54:55]
	v_add_f64 v[16:17], v[93:94], v[16:17]
	v_fma_f64 v[32:33], v[48:49], s[28:29], v[34:35]
	v_fma_f64 v[93:94], v[50:51], s[20:21], v[14:15]
	v_fma_f64 v[103:104], v[48:49], s[14:15], -v[65:66]
	v_fma_f64 v[87:88], v[50:51], s[30:31], v[87:88]
	v_fma_f64 v[34:35], v[48:49], s[28:29], -v[34:35]
	v_fma_f64 v[101:102], v[48:49], s[22:23], v[83:84]
	v_fma_f64 v[83:84], v[48:49], s[22:23], -v[83:84]
	v_fma_f64 v[50:51], v[50:51], s[6:7], v[52:53]
	v_fma_f64 v[52:53], v[48:49], s[14:15], v[65:66]
	v_add_f64 v[6:7], v[26:27], v[75:76]
	v_add_f64 v[26:27], v[105:106], v[24:25]
	;; [unrolled: 1-line block ×5, first 2 shown]
	v_fma_f64 v[56:57], v[48:49], s[4:5], v[58:59]
	v_fma_f64 v[48:49], v[48:49], s[0:1], v[54:55]
	v_add_f64 v[54:55], v[30:31], v[12:13]
	v_add_f64 v[30:31], v[89:90], v[81:82]
	;; [unrolled: 1-line block ×18, first 2 shown]
	ds_write_b128 v45, v[0:3]
	ds_write_b128 v45, v[28:31] offset:16
	ds_write_b128 v45, v[24:27] offset:32
	;; [unrolled: 1-line block ×10, first 2 shown]
.LBB0_13:
	s_or_b32 exec_lo, exec_lo, s33
	v_and_b32_e32 v0, 0xff, v44
	s_waitcnt lgkmcnt(0)
	s_barrier
	buffer_gl0_inv
	s_mov_b32 s4, 0x134454ff
	v_mul_lo_u16 v0, 0x75, v0
	s_mov_b32 s5, 0x3fee6f0e
	s_mov_b32 s15, 0xbfee6f0e
	;; [unrolled: 1-line block ×4, first 2 shown]
	v_lshrrev_b16 v0, 8, v0
	s_mov_b32 s11, 0x3fe2cf23
	s_mov_b32 s13, 0xbfe2cf23
	s_mov_b32 s12, s10
	s_mov_b32 s6, 0x372fe950
	v_sub_nc_u16 v1, v44, v0
	s_mov_b32 s7, 0x3fd3c6ef
	s_mov_b32 s0, 0x9b97f4a8
	;; [unrolled: 1-line block ×3, first 2 shown]
	v_lshrrev_b16 v1, 1, v1
	v_and_b32_e32 v1, 0x7f, v1
	v_add_nc_u16 v0, v1, v0
	v_mov_b32_e32 v1, 9
	v_lshrrev_b16 v2, 3, v0
	v_mul_lo_u16 v0, v2, 11
	v_sub_nc_u16 v3, v44, v0
	v_mul_u32_u24_sdwa v0, v3, v1 dst_sel:DWORD dst_unused:UNUSED_PAD src0_sel:BYTE_0 src1_sel:DWORD
	v_lshlrev_b32_e32 v0, 4, v0
	s_clause 0x8
	global_load_dwordx4 v[4:7], v0, s[8:9] offset:32
	global_load_dwordx4 v[8:11], v0, s[8:9] offset:64
	;; [unrolled: 1-line block ×8, first 2 shown]
	global_load_dwordx4 v[36:39], v0, s[8:9]
	ds_read_b128 v[40:43], v60 offset:2640
	ds_read_b128 v[48:51], v60 offset:4400
	;; [unrolled: 1-line block ×9, first 2 shown]
	ds_read_b128 v[81:84], v60
	s_waitcnt vmcnt(0) lgkmcnt(0)
	s_barrier
	buffer_gl0_inv
	v_mul_f64 v[0:1], v[42:43], v[6:7]
	v_mul_f64 v[6:7], v[40:41], v[6:7]
	;; [unrolled: 1-line block ×13, first 2 shown]
	v_fma_f64 v[0:1], v[40:41], v[4:5], -v[0:1]
	v_fma_f64 v[4:5], v[42:43], v[4:5], v[6:7]
	v_mul_f64 v[6:7], v[69:70], v[30:31]
	v_mul_f64 v[30:31], v[73:74], v[34:35]
	;; [unrolled: 1-line block ×3, first 2 shown]
	v_fma_f64 v[42:43], v[48:49], v[8:9], -v[85:86]
	v_fma_f64 v[8:9], v[50:51], v[8:9], v[10:11]
	v_mul_f64 v[10:11], v[77:78], v[38:39]
	v_fma_f64 v[38:39], v[54:55], v[12:13], v[87:88]
	v_fma_f64 v[12:13], v[52:53], v[12:13], -v[14:15]
	v_mul_f64 v[34:35], v[75:76], v[34:35]
	v_fma_f64 v[48:49], v[58:59], v[16:17], v[89:90]
	v_fma_f64 v[16:17], v[56:57], v[16:17], -v[18:19]
	v_fma_f64 v[14:15], v[61:62], v[20:21], -v[91:92]
	v_fma_f64 v[18:19], v[65:66], v[24:25], -v[93:94]
	v_fma_f64 v[50:51], v[69:70], v[28:29], -v[95:96]
	v_fma_f64 v[20:21], v[63:64], v[20:21], v[22:23]
	v_fma_f64 v[22:23], v[67:68], v[24:25], v[26:27]
	v_fma_f64 v[6:7], v[71:72], v[28:29], v[6:7]
	v_fma_f64 v[24:25], v[75:76], v[32:33], v[30:31]
	v_fma_f64 v[28:29], v[77:78], v[36:37], -v[40:41]
	v_add_f64 v[87:88], v[42:43], -v[0:1]
	v_add_f64 v[91:92], v[4:5], -v[8:9]
	v_fma_f64 v[10:11], v[79:80], v[36:37], v[10:11]
	v_add_f64 v[30:31], v[8:9], v[38:39]
	v_add_f64 v[36:37], v[42:43], v[12:13]
	v_fma_f64 v[26:27], v[73:74], v[32:33], -v[34:35]
	v_add_f64 v[32:33], v[4:5], v[48:49]
	v_add_f64 v[34:35], v[0:1], v[16:17]
	v_add_f64 v[52:53], v[4:5], -v[48:49]
	v_add_f64 v[56:57], v[0:1], -v[16:17]
	;; [unrolled: 1-line block ×4, first 2 shown]
	v_add_f64 v[40:41], v[18:19], v[50:51]
	v_add_f64 v[79:80], v[0:1], -v[42:43]
	v_add_f64 v[85:86], v[16:17], -v[12:13]
	;; [unrolled: 1-line block ×6, first 2 shown]
	v_add_f64 v[63:64], v[22:23], v[6:7]
	v_add_f64 v[65:66], v[20:21], v[24:25]
	;; [unrolled: 1-line block ×6, first 2 shown]
	v_fma_f64 v[30:31], v[30:31], -0.5, v[10:11]
	v_fma_f64 v[36:37], v[36:37], -0.5, v[28:29]
	v_add_f64 v[61:62], v[14:15], v[26:27]
	v_fma_f64 v[32:33], v[32:33], -0.5, v[10:11]
	v_fma_f64 v[34:35], v[34:35], -0.5, v[28:29]
	v_add_f64 v[69:70], v[20:21], -v[24:25]
	v_add_f64 v[71:72], v[14:15], -v[18:19]
	;; [unrolled: 1-line block ×6, first 2 shown]
	v_fma_f64 v[40:41], v[40:41], -0.5, v[81:82]
	v_add_f64 v[79:80], v[79:80], v[85:86]
	v_add_f64 v[87:88], v[87:88], v[89:90]
	;; [unrolled: 1-line block ×4, first 2 shown]
	v_fma_f64 v[63:64], v[63:64], -0.5, v[83:84]
	v_fma_f64 v[65:66], v[65:66], -0.5, v[83:84]
	v_add_f64 v[73:74], v[26:27], -v[50:51]
	v_add_f64 v[18:19], v[67:68], v[18:19]
	v_add_f64 v[0:1], v[0:1], v[42:43]
	;; [unrolled: 1-line block ×3, first 2 shown]
	v_fma_f64 v[99:100], v[56:57], s[14:15], v[30:31]
	v_fma_f64 v[105:106], v[52:53], s[14:15], v[36:37]
	;; [unrolled: 1-line block ×8, first 2 shown]
	v_fma_f64 v[61:62], v[61:62], -0.5, v[81:82]
	v_add_f64 v[81:82], v[20:21], -v[22:23]
	v_add_f64 v[20:21], v[22:23], -v[20:21]
	v_add_f64 v[22:23], v[77:78], v[22:23]
	v_add_f64 v[28:29], v[50:51], -v[26:27]
	v_add_f64 v[83:84], v[24:25], -v[6:7]
	v_fma_f64 v[8:9], v[69:70], s[4:5], v[40:41]
	v_add_f64 v[85:86], v[6:7], -v[24:25]
	v_fma_f64 v[40:41], v[69:70], s[14:15], v[40:41]
	v_add_f64 v[18:19], v[18:19], v[50:51]
	v_add_f64 v[0:1], v[0:1], v[12:13]
	;; [unrolled: 1-line block ×3, first 2 shown]
	v_fma_f64 v[93:94], v[58:59], s[12:13], v[99:100]
	v_fma_f64 v[99:100], v[54:55], s[12:13], v[105:106]
	;; [unrolled: 1-line block ×14, first 2 shown]
	v_add_f64 v[52:53], v[71:72], v[73:74]
	v_add_f64 v[6:7], v[22:23], v[6:7]
	;; [unrolled: 1-line block ×4, first 2 shown]
	v_fma_f64 v[8:9], v[10:11], s[10:11], v[8:9]
	v_add_f64 v[20:21], v[20:21], v[85:86]
	v_fma_f64 v[10:11], v[10:11], s[12:13], v[40:41]
	v_add_f64 v[18:19], v[18:19], v[26:27]
	v_fma_f64 v[65:66], v[89:90], s[6:7], v[93:94]
	v_fma_f64 v[73:74], v[79:80], s[6:7], v[99:100]
	v_fma_f64 v[36:37], v[79:80], s[6:7], v[36:37]
	v_fma_f64 v[67:68], v[91:92], s[6:7], v[95:96]
	v_fma_f64 v[71:72], v[87:88], s[6:7], v[97:98]
	v_fma_f64 v[34:35], v[87:88], s[6:7], v[34:35]
	v_fma_f64 v[32:33], v[91:92], s[6:7], v[32:33]
	v_fma_f64 v[30:31], v[89:90], s[6:7], v[30:31]
	v_fma_f64 v[12:13], v[69:70], s[10:11], v[42:43]
	v_fma_f64 v[22:23], v[69:70], s[12:13], v[54:55]
	v_fma_f64 v[38:39], v[107:108], s[12:13], v[56:57]
	v_fma_f64 v[40:41], v[107:108], s[10:11], v[58:59]
	v_fma_f64 v[42:43], v[14:15], s[12:13], v[61:62]
	v_fma_f64 v[14:15], v[14:15], s[10:11], v[63:64]
	v_add_f64 v[24:25], v[6:7], v[24:25]
	v_add_f64 v[6:7], v[0:1], v[16:17]
	;; [unrolled: 1-line block ×3, first 2 shown]
	v_fma_f64 v[26:27], v[52:53], s[6:7], v[8:9]
	v_mov_b32_e32 v4, 0x6e0
	v_fma_f64 v[48:49], v[52:53], s[6:7], v[10:11]
	v_mov_b32_e32 v5, 4
	v_mul_f64 v[50:51], v[65:66], s[10:11]
	v_mul_f64 v[58:59], v[73:74], s[0:1]
	;; [unrolled: 1-line block ×8, first 2 shown]
	v_fma_f64 v[52:53], v[28:29], s[6:7], v[12:13]
	v_fma_f64 v[28:29], v[28:29], s[6:7], v[22:23]
	;; [unrolled: 1-line block ×6, first 2 shown]
	v_mul_u32_u24_sdwa v45, v2, v4 dst_sel:DWORD dst_unused:UNUSED_PAD src0_sel:WORD_0 src1_sel:DWORD
	v_lshlrev_b32_e32 v0, 2, v44
	v_mov_b32_e32 v1, 0
	v_add_f64 v[8:9], v[24:25], -v[16:17]
	v_fma_f64 v[36:37], v[36:37], s[0:1], v[50:51]
	v_fma_f64 v[38:39], v[30:31], s[10:11], -v[58:59]
	v_fma_f64 v[50:51], v[65:66], s[0:1], v[61:62]
	v_fma_f64 v[34:35], v[34:35], s[6:7], v[54:55]
	v_fma_f64 v[32:33], v[32:33], s[4:5], -v[56:57]
	v_fma_f64 v[54:55], v[67:68], s[6:7], v[63:64]
	v_fma_f64 v[56:57], v[71:72], s[14:15], -v[69:70]
	v_fma_f64 v[58:59], v[73:74], s[12:13], -v[77:78]
	v_lshlrev_b32_sdwa v61, v5, v3 dst_sel:DWORD dst_unused:UNUSED_PAD src0_sel:DWORD src1_sel:BYTE_0
	v_add_f64 v[2:3], v[18:19], v[6:7]
	v_add_f64 v[4:5], v[24:25], v[16:17]
	v_add_f64 v[6:7], v[18:19], -v[6:7]
	v_add3_u32 v45, 0, v45, v61
	v_add_f64 v[10:11], v[26:27], v[36:37]
	v_add_f64 v[22:23], v[48:49], v[38:39]
	;; [unrolled: 1-line block ×8, first 2 shown]
	v_add_f64 v[26:27], v[26:27], -v[36:37]
	v_add_f64 v[30:31], v[52:53], -v[34:35]
	;; [unrolled: 1-line block ×8, first 2 shown]
	v_lshlrev_b64 v[42:43], 4, v[0:1]
	v_add_nc_u32_e32 v0, 0xdc, v0
	ds_write_b128 v45, v[2:5]
	ds_write_b128 v45, v[6:9] offset:880
	ds_write_b128 v45, v[10:13] offset:176
	;; [unrolled: 1-line block ×9, first 2 shown]
	v_lshlrev_b64 v[18:19], 4, v[0:1]
	v_add_co_u32 v42, s0, s8, v42
	v_add_co_ci_u32_e64 v43, s0, s9, v43, s0
	s_waitcnt lgkmcnt(0)
	v_add_co_u32 v30, s0, s8, v18
	s_barrier
	buffer_gl0_inv
	global_load_dwordx4 v[2:5], v[42:43], off offset:1584
	v_add_co_ci_u32_e64 v31, s0, s9, v19, s0
	s_clause 0x6
	global_load_dwordx4 v[6:9], v[42:43], off offset:1600
	global_load_dwordx4 v[10:13], v[42:43], off offset:1616
	;; [unrolled: 1-line block ×7, first 2 shown]
	ds_read_b128 v[34:37], v60 offset:1760
	ds_read_b128 v[38:41], v60 offset:3520
	;; [unrolled: 1-line block ×8, first 2 shown]
	s_waitcnt vmcnt(7) lgkmcnt(7)
	v_mul_f64 v[42:43], v[36:37], v[4:5]
	s_waitcnt vmcnt(6) lgkmcnt(6)
	v_mul_f64 v[73:74], v[40:41], v[8:9]
	v_mul_f64 v[8:9], v[38:39], v[8:9]
	s_waitcnt vmcnt(5) lgkmcnt(5)
	v_mul_f64 v[75:76], v[50:51], v[12:13]
	v_mul_f64 v[12:13], v[48:49], v[12:13]
	;; [unrolled: 1-line block ×3, first 2 shown]
	s_waitcnt vmcnt(4) lgkmcnt(4)
	v_mul_f64 v[77:78], v[52:53], v[16:17]
	v_mul_f64 v[16:17], v[54:55], v[16:17]
	s_waitcnt vmcnt(3) lgkmcnt(3)
	v_mul_f64 v[79:80], v[58:59], v[20:21]
	v_mul_f64 v[20:21], v[56:57], v[20:21]
	;; [unrolled: 3-line block ×5, first 2 shown]
	v_fma_f64 v[34:35], v[34:35], v[2:3], -v[42:43]
	v_fma_f64 v[38:39], v[38:39], v[6:7], -v[73:74]
	v_fma_f64 v[40:41], v[40:41], v[6:7], v[8:9]
	v_fma_f64 v[42:43], v[48:49], v[10:11], -v[75:76]
	v_fma_f64 v[10:11], v[50:51], v[10:11], v[12:13]
	v_fma_f64 v[36:37], v[36:37], v[2:3], v[4:5]
	;; [unrolled: 1-line block ×3, first 2 shown]
	v_fma_f64 v[12:13], v[52:53], v[14:15], -v[16:17]
	v_fma_f64 v[14:15], v[56:57], v[18:19], -v[79:80]
	v_fma_f64 v[16:17], v[58:59], v[18:19], v[20:21]
	v_fma_f64 v[18:19], v[61:62], v[22:23], -v[81:82]
	v_fma_f64 v[20:21], v[63:64], v[22:23], v[24:25]
	;; [unrolled: 2-line block ×4, first 2 shown]
	ds_read_b128 v[2:5], v60
	ds_read_b128 v[6:9], v60 offset:880
	s_waitcnt lgkmcnt(0)
	s_barrier
	buffer_gl0_inv
	v_add_f64 v[54:55], v[34:35], -v[38:39]
	v_add_f64 v[61:62], v[38:39], -v[34:35]
	v_add_f64 v[32:33], v[38:39], v[42:43]
	v_add_f64 v[67:68], v[40:41], v[10:11]
	v_add_f64 v[73:74], v[36:37], -v[40:41]
	v_add_f64 v[69:70], v[36:37], v[48:49]
	v_add_f64 v[58:59], v[34:35], v[12:13]
	v_add_f64 v[56:57], v[12:13], -v[42:43]
	v_add_f64 v[50:51], v[36:37], -v[48:49]
	v_add_f64 v[63:64], v[42:43], -v[12:13]
	v_add_f64 v[75:76], v[48:49], -v[10:11]
	v_add_f64 v[79:80], v[18:19], v[22:23]
	v_add_f64 v[87:88], v[20:21], v[26:27]
	;; [unrolled: 1-line block ×8, first 2 shown]
	v_add_f64 v[34:35], v[34:35], -v[12:13]
	v_add_f64 v[36:37], v[40:41], -v[36:37]
	;; [unrolled: 1-line block ×5, first 2 shown]
	v_fma_f64 v[32:33], v[32:33], -0.5, v[2:3]
	v_fma_f64 v[67:68], v[67:68], -0.5, v[4:5]
	v_add_f64 v[85:86], v[16:17], -v[28:29]
	v_fma_f64 v[4:5], v[69:70], -0.5, v[4:5]
	v_fma_f64 v[2:3], v[58:59], -0.5, v[2:3]
	v_add_f64 v[93:94], v[14:15], -v[18:19]
	v_add_f64 v[97:98], v[18:19], -v[14:15]
	v_add_f64 v[14:15], v[14:15], -v[24:25]
	v_add_f64 v[91:92], v[20:21], -v[26:27]
	v_fma_f64 v[79:80], v[79:80], -0.5, v[6:7]
	v_add_f64 v[95:96], v[24:25], -v[22:23]
	v_add_f64 v[30:31], v[30:31], v[38:39]
	v_add_f64 v[38:39], v[54:55], v[56:57]
	v_fma_f64 v[54:55], v[87:88], -0.5, v[8:9]
	v_add_f64 v[103:104], v[18:19], -v[22:23]
	v_fma_f64 v[6:7], v[81:82], -0.5, v[6:7]
	v_fma_f64 v[8:9], v[89:90], -0.5, v[8:9]
	v_add_f64 v[105:106], v[16:17], -v[20:21]
	v_add_f64 v[16:17], v[20:21], -v[16:17]
	;; [unrolled: 1-line block ×3, first 2 shown]
	v_add_f64 v[40:41], v[65:66], v[40:41]
	v_add_f64 v[18:19], v[83:84], v[18:19]
	;; [unrolled: 1-line block ×6, first 2 shown]
	v_fma_f64 v[73:74], v[50:51], s[4:5], v[32:33]
	v_fma_f64 v[77:78], v[34:35], s[14:15], v[67:68]
	;; [unrolled: 1-line block ×8, first 2 shown]
	v_add_f64 v[58:59], v[28:29], -v[26:27]
	v_fma_f64 v[83:84], v[85:86], s[4:5], v[79:80]
	v_fma_f64 v[89:90], v[14:15], s[14:15], v[54:55]
	v_add_f64 v[99:100], v[22:23], -v[24:25]
	v_add_f64 v[63:64], v[93:94], v[95:96]
	v_fma_f64 v[87:88], v[91:92], s[14:15], v[6:7]
	v_fma_f64 v[93:94], v[103:104], s[4:5], v[8:9]
	;; [unrolled: 1-line block ×6, first 2 shown]
	v_add_f64 v[69:70], v[16:17], v[69:70]
	v_add_f64 v[16:17], v[30:31], v[42:43]
	;; [unrolled: 1-line block ×5, first 2 shown]
	v_fma_f64 v[22:23], v[52:53], s[10:11], v[73:74]
	v_fma_f64 v[40:41], v[71:72], s[12:13], v[77:78]
	;; [unrolled: 1-line block ×8, first 2 shown]
	v_add_f64 v[58:59], v[105:106], v[58:59]
	v_fma_f64 v[52:53], v[91:92], s[10:11], v[83:84]
	v_fma_f64 v[75:76], v[103:104], s[12:13], v[89:90]
	v_add_f64 v[65:66], v[97:98], v[99:100]
	v_fma_f64 v[71:72], v[85:86], s[10:11], v[87:88]
	v_fma_f64 v[77:78], v[14:15], s[12:13], v[93:94]
	;; [unrolled: 1-line block ×6, first 2 shown]
	v_add_f64 v[2:3], v[16:17], v[12:13]
	v_add_f64 v[4:5], v[10:11], v[48:49]
	;; [unrolled: 1-line block ×4, first 2 shown]
	v_fma_f64 v[10:11], v[38:39], s[6:7], v[22:23]
	v_fma_f64 v[12:13], v[61:62], s[6:7], v[40:41]
	v_fma_f64 v[14:15], v[38:39], s[6:7], v[26:27]
	v_fma_f64 v[18:19], v[56:57], s[6:7], v[30:31]
	v_fma_f64 v[22:23], v[56:57], s[6:7], v[32:33]
	v_fma_f64 v[20:21], v[36:37], s[6:7], v[50:51]
	v_fma_f64 v[24:25], v[36:37], s[6:7], v[34:35]
	v_fma_f64 v[16:17], v[61:62], s[6:7], v[42:43]
	v_fma_f64 v[26:27], v[63:64], s[6:7], v[52:53]
	v_fma_f64 v[28:29], v[58:59], s[6:7], v[75:76]
	v_fma_f64 v[34:35], v[65:66], s[6:7], v[71:72]
	v_fma_f64 v[36:37], v[69:70], s[6:7], v[77:78]
	v_fma_f64 v[30:31], v[63:64], s[6:7], v[67:68]
	v_fma_f64 v[38:39], v[65:66], s[6:7], v[73:74]
	v_fma_f64 v[40:41], v[69:70], s[6:7], v[79:80]
	v_fma_f64 v[32:33], v[58:59], s[6:7], v[54:55]
	ds_write_b128 v60, v[2:5]
	ds_write_b128 v60, v[6:9] offset:880
	ds_write_b128 v60, v[10:13] offset:1760
	;; [unrolled: 1-line block ×9, first 2 shown]
	s_waitcnt lgkmcnt(0)
	s_barrier
	buffer_gl0_inv
	s_and_saveexec_b32 s0, vcc_lo
	s_cbranch_execz .LBB0_15
; %bb.14:
	v_mov_b32_e32 v45, v1
	ds_read_b128 v[0:3], v60
	ds_read_b128 v[4:7], v60 offset:880
	ds_read_b128 v[8:11], v60 offset:1760
	v_add_co_u32 v18, vcc_lo, s2, v46
	v_add_co_ci_u32_e32 v19, vcc_lo, s3, v47, vcc_lo
	v_lshlrev_b64 v[16:17], 4, v[44:45]
	ds_read_b128 v[12:15], v60 offset:2640
	v_add_co_u32 v32, vcc_lo, v18, v16
	v_add_co_ci_u32_e32 v33, vcc_lo, v19, v17, vcc_lo
	ds_read_b128 v[16:19], v60 offset:3520
	ds_read_b128 v[20:23], v60 offset:4400
	;; [unrolled: 1-line block ×4, first 2 shown]
	s_waitcnt lgkmcnt(7)
	global_store_dwordx4 v[32:33], v[0:3], off
	s_waitcnt lgkmcnt(6)
	global_store_dwordx4 v[32:33], v[4:7], off offset:880
	ds_read_b128 v[0:3], v60 offset:7040
	ds_read_b128 v[4:7], v60 offset:7920
	s_waitcnt lgkmcnt(7)
	global_store_dwordx4 v[32:33], v[8:11], off offset:1760
	v_add_co_u32 v8, vcc_lo, 0x800, v32
	v_add_co_ci_u32_e32 v9, vcc_lo, 0, v33, vcc_lo
	v_add_co_u32 v10, vcc_lo, 0x1000, v32
	v_add_co_ci_u32_e32 v11, vcc_lo, 0, v33, vcc_lo
	;; [unrolled: 2-line block ×3, first 2 shown]
	s_waitcnt lgkmcnt(6)
	global_store_dwordx4 v[8:9], v[12:15], off offset:592
	s_waitcnt lgkmcnt(5)
	global_store_dwordx4 v[8:9], v[16:19], off offset:1472
	;; [unrolled: 2-line block ×7, first 2 shown]
.LBB0_15:
	s_endpgm
	.section	.rodata,"a",@progbits
	.p2align	6, 0x0
	.amdhsa_kernel fft_rtc_fwd_len550_factors_11_10_5_wgs_55_tpt_55_dp_ip_CI_unitstride_sbrr_dirReg
		.amdhsa_group_segment_fixed_size 0
		.amdhsa_private_segment_fixed_size 0
		.amdhsa_kernarg_size 88
		.amdhsa_user_sgpr_count 6
		.amdhsa_user_sgpr_private_segment_buffer 1
		.amdhsa_user_sgpr_dispatch_ptr 0
		.amdhsa_user_sgpr_queue_ptr 0
		.amdhsa_user_sgpr_kernarg_segment_ptr 1
		.amdhsa_user_sgpr_dispatch_id 0
		.amdhsa_user_sgpr_flat_scratch_init 0
		.amdhsa_user_sgpr_private_segment_size 0
		.amdhsa_wavefront_size32 1
		.amdhsa_uses_dynamic_stack 0
		.amdhsa_system_sgpr_private_segment_wavefront_offset 0
		.amdhsa_system_sgpr_workgroup_id_x 1
		.amdhsa_system_sgpr_workgroup_id_y 0
		.amdhsa_system_sgpr_workgroup_id_z 0
		.amdhsa_system_sgpr_workgroup_info 0
		.amdhsa_system_vgpr_workitem_id 0
		.amdhsa_next_free_vgpr 111
		.amdhsa_next_free_sgpr 36
		.amdhsa_reserve_vcc 1
		.amdhsa_reserve_flat_scratch 0
		.amdhsa_float_round_mode_32 0
		.amdhsa_float_round_mode_16_64 0
		.amdhsa_float_denorm_mode_32 3
		.amdhsa_float_denorm_mode_16_64 3
		.amdhsa_dx10_clamp 1
		.amdhsa_ieee_mode 1
		.amdhsa_fp16_overflow 0
		.amdhsa_workgroup_processor_mode 1
		.amdhsa_memory_ordered 1
		.amdhsa_forward_progress 0
		.amdhsa_shared_vgpr_count 0
		.amdhsa_exception_fp_ieee_invalid_op 0
		.amdhsa_exception_fp_denorm_src 0
		.amdhsa_exception_fp_ieee_div_zero 0
		.amdhsa_exception_fp_ieee_overflow 0
		.amdhsa_exception_fp_ieee_underflow 0
		.amdhsa_exception_fp_ieee_inexact 0
		.amdhsa_exception_int_div_zero 0
	.end_amdhsa_kernel
	.text
.Lfunc_end0:
	.size	fft_rtc_fwd_len550_factors_11_10_5_wgs_55_tpt_55_dp_ip_CI_unitstride_sbrr_dirReg, .Lfunc_end0-fft_rtc_fwd_len550_factors_11_10_5_wgs_55_tpt_55_dp_ip_CI_unitstride_sbrr_dirReg
                                        ; -- End function
	.section	.AMDGPU.csdata,"",@progbits
; Kernel info:
; codeLenInByte = 8028
; NumSgprs: 38
; NumVgprs: 111
; ScratchSize: 0
; MemoryBound: 0
; FloatMode: 240
; IeeeMode: 1
; LDSByteSize: 0 bytes/workgroup (compile time only)
; SGPRBlocks: 4
; VGPRBlocks: 13
; NumSGPRsForWavesPerEU: 38
; NumVGPRsForWavesPerEU: 111
; Occupancy: 9
; WaveLimiterHint : 1
; COMPUTE_PGM_RSRC2:SCRATCH_EN: 0
; COMPUTE_PGM_RSRC2:USER_SGPR: 6
; COMPUTE_PGM_RSRC2:TRAP_HANDLER: 0
; COMPUTE_PGM_RSRC2:TGID_X_EN: 1
; COMPUTE_PGM_RSRC2:TGID_Y_EN: 0
; COMPUTE_PGM_RSRC2:TGID_Z_EN: 0
; COMPUTE_PGM_RSRC2:TIDIG_COMP_CNT: 0
	.text
	.p2alignl 6, 3214868480
	.fill 48, 4, 3214868480
	.type	__hip_cuid_11cec55f39bec350,@object ; @__hip_cuid_11cec55f39bec350
	.section	.bss,"aw",@nobits
	.globl	__hip_cuid_11cec55f39bec350
__hip_cuid_11cec55f39bec350:
	.byte	0                               ; 0x0
	.size	__hip_cuid_11cec55f39bec350, 1

	.ident	"AMD clang version 19.0.0git (https://github.com/RadeonOpenCompute/llvm-project roc-6.4.0 25133 c7fe45cf4b819c5991fe208aaa96edf142730f1d)"
	.section	".note.GNU-stack","",@progbits
	.addrsig
	.addrsig_sym __hip_cuid_11cec55f39bec350
	.amdgpu_metadata
---
amdhsa.kernels:
  - .args:
      - .actual_access:  read_only
        .address_space:  global
        .offset:         0
        .size:           8
        .value_kind:     global_buffer
      - .offset:         8
        .size:           8
        .value_kind:     by_value
      - .actual_access:  read_only
        .address_space:  global
        .offset:         16
        .size:           8
        .value_kind:     global_buffer
      - .actual_access:  read_only
        .address_space:  global
        .offset:         24
        .size:           8
        .value_kind:     global_buffer
      - .offset:         32
        .size:           8
        .value_kind:     by_value
      - .actual_access:  read_only
        .address_space:  global
        .offset:         40
        .size:           8
        .value_kind:     global_buffer
      - .actual_access:  read_only
        .address_space:  global
        .offset:         48
        .size:           8
        .value_kind:     global_buffer
      - .offset:         56
        .size:           4
        .value_kind:     by_value
      - .actual_access:  read_only
        .address_space:  global
        .offset:         64
        .size:           8
        .value_kind:     global_buffer
      - .actual_access:  read_only
        .address_space:  global
        .offset:         72
        .size:           8
        .value_kind:     global_buffer
      - .address_space:  global
        .offset:         80
        .size:           8
        .value_kind:     global_buffer
    .group_segment_fixed_size: 0
    .kernarg_segment_align: 8
    .kernarg_segment_size: 88
    .language:       OpenCL C
    .language_version:
      - 2
      - 0
    .max_flat_workgroup_size: 55
    .name:           fft_rtc_fwd_len550_factors_11_10_5_wgs_55_tpt_55_dp_ip_CI_unitstride_sbrr_dirReg
    .private_segment_fixed_size: 0
    .sgpr_count:     38
    .sgpr_spill_count: 0
    .symbol:         fft_rtc_fwd_len550_factors_11_10_5_wgs_55_tpt_55_dp_ip_CI_unitstride_sbrr_dirReg.kd
    .uniform_work_group_size: 1
    .uses_dynamic_stack: false
    .vgpr_count:     111
    .vgpr_spill_count: 0
    .wavefront_size: 32
    .workgroup_processor_mode: 1
amdhsa.target:   amdgcn-amd-amdhsa--gfx1030
amdhsa.version:
  - 1
  - 2
...

	.end_amdgpu_metadata
